;; amdgpu-corpus repo=ROCm/rocFFT kind=compiled arch=gfx1030 opt=O3
	.text
	.amdgcn_target "amdgcn-amd-amdhsa--gfx1030"
	.amdhsa_code_object_version 6
	.protected	fft_rtc_fwd_len693_factors_11_7_9_wgs_99_tpt_99_halfLds_dp_op_CI_CI_unitstride_sbrr_dirReg ; -- Begin function fft_rtc_fwd_len693_factors_11_7_9_wgs_99_tpt_99_halfLds_dp_op_CI_CI_unitstride_sbrr_dirReg
	.globl	fft_rtc_fwd_len693_factors_11_7_9_wgs_99_tpt_99_halfLds_dp_op_CI_CI_unitstride_sbrr_dirReg
	.p2align	8
	.type	fft_rtc_fwd_len693_factors_11_7_9_wgs_99_tpt_99_halfLds_dp_op_CI_CI_unitstride_sbrr_dirReg,@function
fft_rtc_fwd_len693_factors_11_7_9_wgs_99_tpt_99_halfLds_dp_op_CI_CI_unitstride_sbrr_dirReg: ; @fft_rtc_fwd_len693_factors_11_7_9_wgs_99_tpt_99_halfLds_dp_op_CI_CI_unitstride_sbrr_dirReg
; %bb.0:
	s_clause 0x2
	s_load_dwordx4 s[12:15], s[4:5], 0x0
	s_load_dwordx4 s[8:11], s[4:5], 0x58
	;; [unrolled: 1-line block ×3, first 2 shown]
	v_mul_u32_u24_e32 v1, 0x296, v0
	v_mov_b32_e32 v3, 0
	v_add_nc_u32_sdwa v5, s6, v1 dst_sel:DWORD dst_unused:UNUSED_PAD src0_sel:DWORD src1_sel:WORD_1
	v_mov_b32_e32 v1, 0
	v_mov_b32_e32 v6, v3
	v_mov_b32_e32 v2, 0
	s_waitcnt lgkmcnt(0)
	v_cmp_lt_u64_e64 s0, s[14:15], 2
	s_and_b32 vcc_lo, exec_lo, s0
	s_cbranch_vccnz .LBB0_8
; %bb.1:
	s_load_dwordx2 s[0:1], s[4:5], 0x10
	v_mov_b32_e32 v1, 0
	v_mov_b32_e32 v2, 0
	s_add_u32 s2, s18, 8
	s_addc_u32 s3, s19, 0
	s_add_u32 s6, s16, 8
	s_addc_u32 s7, s17, 0
	v_mov_b32_e32 v61, v2
	v_mov_b32_e32 v60, v1
	s_mov_b64 s[22:23], 1
	s_waitcnt lgkmcnt(0)
	s_add_u32 s20, s0, 8
	s_addc_u32 s21, s1, 0
.LBB0_2:                                ; =>This Inner Loop Header: Depth=1
	s_load_dwordx2 s[24:25], s[20:21], 0x0
                                        ; implicit-def: $vgpr62_vgpr63
	s_mov_b32 s0, exec_lo
	s_waitcnt lgkmcnt(0)
	v_or_b32_e32 v4, s25, v6
	v_cmpx_ne_u64_e32 0, v[3:4]
	s_xor_b32 s1, exec_lo, s0
	s_cbranch_execz .LBB0_4
; %bb.3:                                ;   in Loop: Header=BB0_2 Depth=1
	v_cvt_f32_u32_e32 v4, s24
	v_cvt_f32_u32_e32 v7, s25
	s_sub_u32 s0, 0, s24
	s_subb_u32 s26, 0, s25
	v_fmac_f32_e32 v4, 0x4f800000, v7
	v_rcp_f32_e32 v4, v4
	v_mul_f32_e32 v4, 0x5f7ffffc, v4
	v_mul_f32_e32 v7, 0x2f800000, v4
	v_trunc_f32_e32 v7, v7
	v_fmac_f32_e32 v4, 0xcf800000, v7
	v_cvt_u32_f32_e32 v7, v7
	v_cvt_u32_f32_e32 v4, v4
	v_mul_lo_u32 v8, s0, v7
	v_mul_hi_u32 v9, s0, v4
	v_mul_lo_u32 v10, s26, v4
	v_add_nc_u32_e32 v8, v9, v8
	v_mul_lo_u32 v9, s0, v4
	v_add_nc_u32_e32 v8, v8, v10
	v_mul_hi_u32 v10, v4, v9
	v_mul_lo_u32 v11, v4, v8
	v_mul_hi_u32 v12, v4, v8
	v_mul_hi_u32 v13, v7, v9
	v_mul_lo_u32 v9, v7, v9
	v_mul_hi_u32 v14, v7, v8
	v_mul_lo_u32 v8, v7, v8
	v_add_co_u32 v10, vcc_lo, v10, v11
	v_add_co_ci_u32_e32 v11, vcc_lo, 0, v12, vcc_lo
	v_add_co_u32 v9, vcc_lo, v10, v9
	v_add_co_ci_u32_e32 v9, vcc_lo, v11, v13, vcc_lo
	v_add_co_ci_u32_e32 v10, vcc_lo, 0, v14, vcc_lo
	v_add_co_u32 v8, vcc_lo, v9, v8
	v_add_co_ci_u32_e32 v9, vcc_lo, 0, v10, vcc_lo
	v_add_co_u32 v4, vcc_lo, v4, v8
	v_add_co_ci_u32_e32 v7, vcc_lo, v7, v9, vcc_lo
	v_mul_hi_u32 v8, s0, v4
	v_mul_lo_u32 v10, s26, v4
	v_mul_lo_u32 v9, s0, v7
	v_add_nc_u32_e32 v8, v8, v9
	v_mul_lo_u32 v9, s0, v4
	v_add_nc_u32_e32 v8, v8, v10
	v_mul_hi_u32 v10, v4, v9
	v_mul_lo_u32 v11, v4, v8
	v_mul_hi_u32 v12, v4, v8
	v_mul_hi_u32 v13, v7, v9
	v_mul_lo_u32 v9, v7, v9
	v_mul_hi_u32 v14, v7, v8
	v_mul_lo_u32 v8, v7, v8
	v_add_co_u32 v10, vcc_lo, v10, v11
	v_add_co_ci_u32_e32 v11, vcc_lo, 0, v12, vcc_lo
	v_add_co_u32 v9, vcc_lo, v10, v9
	v_add_co_ci_u32_e32 v9, vcc_lo, v11, v13, vcc_lo
	v_add_co_ci_u32_e32 v10, vcc_lo, 0, v14, vcc_lo
	v_add_co_u32 v8, vcc_lo, v9, v8
	v_add_co_ci_u32_e32 v9, vcc_lo, 0, v10, vcc_lo
	v_add_co_u32 v4, vcc_lo, v4, v8
	v_add_co_ci_u32_e32 v11, vcc_lo, v7, v9, vcc_lo
	v_mul_hi_u32 v13, v5, v4
	v_mad_u64_u32 v[9:10], null, v6, v4, 0
	v_mad_u64_u32 v[7:8], null, v5, v11, 0
	;; [unrolled: 1-line block ×3, first 2 shown]
	v_add_co_u32 v4, vcc_lo, v13, v7
	v_add_co_ci_u32_e32 v7, vcc_lo, 0, v8, vcc_lo
	v_add_co_u32 v4, vcc_lo, v4, v9
	v_add_co_ci_u32_e32 v4, vcc_lo, v7, v10, vcc_lo
	v_add_co_ci_u32_e32 v7, vcc_lo, 0, v12, vcc_lo
	v_add_co_u32 v4, vcc_lo, v4, v11
	v_add_co_ci_u32_e32 v9, vcc_lo, 0, v7, vcc_lo
	v_mul_lo_u32 v10, s25, v4
	v_mad_u64_u32 v[7:8], null, s24, v4, 0
	v_mul_lo_u32 v11, s24, v9
	v_sub_co_u32 v7, vcc_lo, v5, v7
	v_add3_u32 v8, v8, v11, v10
	v_sub_nc_u32_e32 v10, v6, v8
	v_subrev_co_ci_u32_e64 v10, s0, s25, v10, vcc_lo
	v_add_co_u32 v11, s0, v4, 2
	v_add_co_ci_u32_e64 v12, s0, 0, v9, s0
	v_sub_co_u32 v13, s0, v7, s24
	v_sub_co_ci_u32_e32 v8, vcc_lo, v6, v8, vcc_lo
	v_subrev_co_ci_u32_e64 v10, s0, 0, v10, s0
	v_cmp_le_u32_e32 vcc_lo, s24, v13
	v_cmp_eq_u32_e64 s0, s25, v8
	v_cndmask_b32_e64 v13, 0, -1, vcc_lo
	v_cmp_le_u32_e32 vcc_lo, s25, v10
	v_cndmask_b32_e64 v14, 0, -1, vcc_lo
	v_cmp_le_u32_e32 vcc_lo, s24, v7
	;; [unrolled: 2-line block ×3, first 2 shown]
	v_cndmask_b32_e64 v15, 0, -1, vcc_lo
	v_cmp_eq_u32_e32 vcc_lo, s25, v10
	v_cndmask_b32_e64 v7, v15, v7, s0
	v_cndmask_b32_e32 v10, v14, v13, vcc_lo
	v_add_co_u32 v13, vcc_lo, v4, 1
	v_add_co_ci_u32_e32 v14, vcc_lo, 0, v9, vcc_lo
	v_cmp_ne_u32_e32 vcc_lo, 0, v10
	v_cndmask_b32_e32 v8, v14, v12, vcc_lo
	v_cndmask_b32_e32 v10, v13, v11, vcc_lo
	v_cmp_ne_u32_e32 vcc_lo, 0, v7
	v_cndmask_b32_e32 v63, v9, v8, vcc_lo
	v_cndmask_b32_e32 v62, v4, v10, vcc_lo
.LBB0_4:                                ;   in Loop: Header=BB0_2 Depth=1
	s_andn2_saveexec_b32 s0, s1
	s_cbranch_execz .LBB0_6
; %bb.5:                                ;   in Loop: Header=BB0_2 Depth=1
	v_cvt_f32_u32_e32 v4, s24
	s_sub_i32 s1, 0, s24
	v_mov_b32_e32 v63, v3
	v_rcp_iflag_f32_e32 v4, v4
	v_mul_f32_e32 v4, 0x4f7ffffe, v4
	v_cvt_u32_f32_e32 v4, v4
	v_mul_lo_u32 v7, s1, v4
	v_mul_hi_u32 v7, v4, v7
	v_add_nc_u32_e32 v4, v4, v7
	v_mul_hi_u32 v4, v5, v4
	v_mul_lo_u32 v7, v4, s24
	v_add_nc_u32_e32 v8, 1, v4
	v_sub_nc_u32_e32 v7, v5, v7
	v_subrev_nc_u32_e32 v9, s24, v7
	v_cmp_le_u32_e32 vcc_lo, s24, v7
	v_cndmask_b32_e32 v7, v7, v9, vcc_lo
	v_cndmask_b32_e32 v4, v4, v8, vcc_lo
	v_cmp_le_u32_e32 vcc_lo, s24, v7
	v_add_nc_u32_e32 v8, 1, v4
	v_cndmask_b32_e32 v62, v4, v8, vcc_lo
.LBB0_6:                                ;   in Loop: Header=BB0_2 Depth=1
	s_or_b32 exec_lo, exec_lo, s0
	v_mul_lo_u32 v4, v63, s24
	v_mul_lo_u32 v9, v62, s25
	s_load_dwordx2 s[0:1], s[6:7], 0x0
	v_mad_u64_u32 v[7:8], null, v62, s24, 0
	s_load_dwordx2 s[24:25], s[2:3], 0x0
	s_add_u32 s22, s22, 1
	s_addc_u32 s23, s23, 0
	s_add_u32 s2, s2, 8
	s_addc_u32 s3, s3, 0
	s_add_u32 s6, s6, 8
	v_add3_u32 v4, v8, v9, v4
	v_sub_co_u32 v5, vcc_lo, v5, v7
	s_addc_u32 s7, s7, 0
	s_add_u32 s20, s20, 8
	v_sub_co_ci_u32_e32 v4, vcc_lo, v6, v4, vcc_lo
	s_addc_u32 s21, s21, 0
	s_waitcnt lgkmcnt(0)
	v_mul_lo_u32 v6, s0, v4
	v_mul_lo_u32 v7, s1, v5
	v_mad_u64_u32 v[1:2], null, s0, v5, v[1:2]
	v_mul_lo_u32 v4, s24, v4
	v_mul_lo_u32 v8, s25, v5
	v_mad_u64_u32 v[60:61], null, s24, v5, v[60:61]
	v_cmp_ge_u64_e64 s0, s[22:23], s[14:15]
	v_add3_u32 v2, v7, v2, v6
	v_add3_u32 v61, v8, v61, v4
	s_and_b32 vcc_lo, exec_lo, s0
	s_cbranch_vccnz .LBB0_9
; %bb.7:                                ;   in Loop: Header=BB0_2 Depth=1
	v_mov_b32_e32 v5, v62
	v_mov_b32_e32 v6, v63
	s_branch .LBB0_2
.LBB0_8:
	v_mov_b32_e32 v61, v2
	v_mov_b32_e32 v63, v6
	;; [unrolled: 1-line block ×4, first 2 shown]
.LBB0_9:
	s_load_dwordx2 s[0:1], s[4:5], 0x28
	v_mul_hi_u32 v3, 0x295fad5, v0
	s_lshl_b64 s[4:5], s[14:15], 3
                                        ; implicit-def: $vgpr14_vgpr15
                                        ; implicit-def: $vgpr10_vgpr11
                                        ; implicit-def: $vgpr18_vgpr19
                                        ; implicit-def: $vgpr22_vgpr23
                                        ; implicit-def: $vgpr26_vgpr27
                                        ; implicit-def: $vgpr30_vgpr31
                                        ; implicit-def: $vgpr38_vgpr39
                                        ; implicit-def: $vgpr42_vgpr43
                                        ; implicit-def: $vgpr46_vgpr47
                                        ; implicit-def: $vgpr34_vgpr35
                                        ; implicit-def: $vgpr6_vgpr7
	s_add_u32 s2, s18, s4
	s_addc_u32 s3, s19, s5
	v_mul_u32_u24_e32 v3, 0x63, v3
	v_sub_nc_u32_e32 v64, v0, v3
	s_waitcnt lgkmcnt(0)
	v_cmp_gt_u64_e32 vcc_lo, s[0:1], v[62:63]
	v_cmp_gt_u32_e64 s0, 63, v64
	s_and_b32 s1, vcc_lo, s0
	s_and_saveexec_b32 s6, s1
	s_cbranch_execz .LBB0_11
; %bb.10:
	s_add_u32 s4, s16, s4
	s_addc_u32 s5, s17, s5
	v_mov_b32_e32 v65, 0
	s_load_dwordx2 s[4:5], s[4:5], 0x0
	s_waitcnt lgkmcnt(0)
	v_mul_lo_u32 v0, s5, v62
	v_mul_lo_u32 v5, s4, v63
	v_mad_u64_u32 v[3:4], null, s4, v62, 0
	v_add3_u32 v4, v4, v5, v0
	v_lshlrev_b64 v[0:1], 4, v[1:2]
	v_lshlrev_b64 v[3:4], 4, v[3:4]
	v_add_co_u32 v5, s1, s8, v3
	v_add_co_ci_u32_e64 v4, s1, s9, v4, s1
	v_lshlrev_b64 v[2:3], 4, v[64:65]
	v_add_co_u32 v0, s1, v5, v0
	v_add_co_ci_u32_e64 v1, s1, v4, v1, s1
	v_add_co_u32 v0, s1, v0, v2
	v_add_co_ci_u32_e64 v1, s1, v1, v3, s1
	s_clause 0x1
	global_load_dwordx4 v[4:7], v[0:1], off
	global_load_dwordx4 v[32:35], v[0:1], off offset:1008
	v_add_co_u32 v2, s1, 0x800, v0
	v_add_co_ci_u32_e64 v3, s1, 0, v1, s1
	v_add_co_u32 v8, s1, 0x1000, v0
	v_add_co_ci_u32_e64 v9, s1, 0, v1, s1
	;; [unrolled: 2-line block ×4, first 2 shown]
	s_clause 0x8
	global_load_dwordx4 v[44:47], v[0:1], off offset:2016
	global_load_dwordx4 v[40:43], v[2:3], off offset:976
	;; [unrolled: 1-line block ×9, first 2 shown]
.LBB0_11:
	s_or_b32 exec_lo, exec_lo, s6
	s_waitcnt vmcnt(0)
	v_add_f64 v[0:1], v[12:13], v[32:33]
	s_mov_b32 s8, 0x640f44db
	s_mov_b32 s4, 0x7f775887
	;; [unrolled: 1-line block ×4, first 2 shown]
	v_add_f64 v[50:51], v[34:35], -v[14:15]
	v_add_f64 v[48:49], v[8:9], v[44:45]
	s_mov_b32 s20, 0x43842ef
	s_mov_b32 s14, 0x9bcd5057
	;; [unrolled: 1-line block ×6, first 2 shown]
	v_add_f64 v[77:78], v[46:47], -v[10:11]
	v_add_f64 v[56:57], v[16:17], v[40:41]
	s_mov_b32 s24, 0xfd768dbf
	s_mov_b32 s6, 0xd9c712b6
	;; [unrolled: 1-line block ×7, first 2 shown]
	v_mul_f64 v[69:70], v[0:1], s[8:9]
	v_mul_f64 v[73:74], v[0:1], s[4:5]
	s_mov_b32 s26, s20
	v_add_f64 v[89:90], v[42:43], -v[18:19]
	v_add_f64 v[52:53], v[20:21], v[36:37]
	s_mov_b32 s22, 0x8eee2c13
	v_mul_f64 v[79:80], v[48:49], s[14:15]
	v_mul_f64 v[81:82], v[48:49], s[8:9]
	s_mov_b32 s28, 0xf8bb580b
	s_mov_b32 s23, 0x3fed1bb4
	;; [unrolled: 1-line block ×3, first 2 shown]
	v_add_f64 v[85:86], v[38:39], -v[22:23]
	s_mov_b32 s31, 0xbfd207e7
	s_mov_b32 s30, s24
	v_mul_f64 v[87:88], v[56:57], s[6:7]
	v_mul_f64 v[91:92], v[56:57], s[16:17]
	v_add_f64 v[83:84], v[30:31], -v[26:27]
	v_fma_f64 v[2:3], v[50:51], s[20:21], v[69:70]
	v_fma_f64 v[54:55], v[50:51], s[18:19], v[73:74]
	v_mul_f64 v[71:72], v[52:53], s[16:17]
	v_mul_f64 v[75:76], v[52:53], s[14:15]
	v_fma_f64 v[58:59], v[77:78], s[24:25], v[79:80]
	v_fma_f64 v[65:66], v[77:78], s[26:27], v[81:82]
	;; [unrolled: 1-line block ×4, first 2 shown]
	v_add_f64 v[2:3], v[4:5], v[2:3]
	v_add_f64 v[67:68], v[4:5], v[54:55]
	;; [unrolled: 1-line block ×3, first 2 shown]
	v_fma_f64 v[97:98], v[85:86], s[28:29], v[71:72]
	v_fma_f64 v[99:100], v[85:86], s[30:31], v[75:76]
	v_add_f64 v[2:3], v[58:59], v[2:3]
	v_add_f64 v[65:66], v[65:66], v[67:68]
	v_mul_f64 v[58:59], v[54:55], s[4:5]
	v_mul_f64 v[67:68], v[54:55], s[6:7]
	v_add_f64 v[2:3], v[93:94], v[2:3]
	v_add_f64 v[65:66], v[95:96], v[65:66]
	v_fma_f64 v[93:94], v[83:84], s[18:19], v[58:59]
	v_fma_f64 v[95:96], v[83:84], s[22:23], v[67:68]
	v_add_f64 v[2:3], v[97:98], v[2:3]
	v_add_f64 v[97:98], v[99:100], v[65:66]
	v_add_f64 v[65:66], v[93:94], v[2:3]
	v_add_f64 v[2:3], v[95:96], v[97:98]
	s_and_saveexec_b32 s1, s0
	s_cbranch_execz .LBB0_13
; %bb.12:
	v_add_f64 v[93:94], v[32:33], v[4:5]
	v_mul_f64 v[95:96], v[50:51], s[30:31]
	v_mul_f64 v[97:98], v[50:51], s[18:19]
	s_mov_b32 s35, 0xbfed1bb4
	s_mov_b32 s34, s22
	v_mul_f64 v[99:100], v[50:51], s[20:21]
	v_mul_f64 v[101:102], v[50:51], s[28:29]
	;; [unrolled: 1-line block ×3, first 2 shown]
	s_mov_b32 s37, 0x3fe14ced
	s_mov_b32 s36, s28
	v_mul_f64 v[103:104], v[89:90], s[28:29]
	v_mul_f64 v[105:106], v[77:78], s[26:27]
	;; [unrolled: 1-line block ×10, first 2 shown]
	v_add_f64 v[93:94], v[44:45], v[93:94]
	v_fma_f64 v[111:112], v[0:1], s[14:15], v[95:96]
	v_fma_f64 v[95:96], v[0:1], s[14:15], -v[95:96]
	v_add_f64 v[73:74], v[73:74], -v[97:98]
	v_add_f64 v[69:70], v[69:70], -v[99:100]
	v_fma_f64 v[97:98], v[0:1], s[16:17], -v[101:102]
	v_fma_f64 v[99:100], v[0:1], s[6:7], -v[50:51]
	v_fma_f64 v[50:51], v[0:1], s[6:7], v[50:51]
	v_fma_f64 v[0:1], v[0:1], s[16:17], v[101:102]
	v_mul_f64 v[101:102], v[89:90], s[18:19]
	v_mul_f64 v[89:90], v[89:90], s[20:21]
	v_add_f64 v[91:92], v[91:92], -v[103:104]
	v_add_f64 v[81:82], v[81:82], -v[105:106]
	;; [unrolled: 1-line block ×3, first 2 shown]
	v_fma_f64 v[103:104], v[48:49], s[16:17], v[109:110]
	v_fma_f64 v[107:108], v[48:49], s[4:5], v[113:114]
	v_fma_f64 v[109:110], v[48:49], s[16:17], -v[109:110]
	v_add_f64 v[75:76], v[75:76], -v[115:116]
	v_add_f64 v[71:72], v[71:72], -v[121:122]
	v_add_f64 v[93:94], v[40:41], v[93:94]
	v_add_f64 v[105:106], v[4:5], v[111:112]
	v_fma_f64 v[111:112], v[48:49], s[4:5], -v[113:114]
	v_fma_f64 v[113:114], v[48:49], s[6:7], v[77:78]
	v_fma_f64 v[48:49], v[48:49], s[6:7], -v[77:78]
	v_add_f64 v[77:78], v[4:5], v[95:96]
	v_add_f64 v[73:74], v[4:5], v[73:74]
	;; [unrolled: 1-line block ×7, first 2 shown]
	v_add_f64 v[4:5], v[87:88], -v[117:118]
	v_fma_f64 v[87:88], v[56:57], s[4:5], v[101:102]
	v_fma_f64 v[99:100], v[56:57], s[4:5], -v[101:102]
	v_fma_f64 v[101:102], v[56:57], s[14:15], v[119:120]
	v_fma_f64 v[117:118], v[56:57], s[14:15], -v[119:120]
	;; [unrolled: 2-line block ×3, first 2 shown]
	v_mul_f64 v[89:90], v[85:86], s[22:23]
	v_add_f64 v[93:94], v[36:37], v[93:94]
	v_add_f64 v[103:104], v[103:104], v[105:106]
	v_mul_f64 v[105:106], v[85:86], s[26:27]
	v_mul_f64 v[85:86], v[85:86], s[18:19]
	v_add_f64 v[77:78], v[109:110], v[77:78]
	v_add_f64 v[73:74], v[81:82], v[73:74]
	v_add_f64 v[69:70], v[79:80], v[69:70]
	v_add_f64 v[48:49], v[48:49], v[95:96]
	v_add_f64 v[79:80], v[111:112], v[97:98]
	v_add_f64 v[50:51], v[107:108], v[50:51]
	v_add_f64 v[0:1], v[113:114], v[0:1]
	v_mul_f64 v[95:96], v[83:84], s[20:21]
	v_mul_f64 v[97:98], v[83:84], s[22:23]
	;; [unrolled: 1-line block ×3, first 2 shown]
	v_fma_f64 v[109:110], v[52:53], s[6:7], v[89:90]
	v_fma_f64 v[89:90], v[52:53], s[6:7], -v[89:90]
	v_add_f64 v[93:94], v[28:29], v[93:94]
	v_fma_f64 v[111:112], v[52:53], s[8:9], v[105:106]
	v_fma_f64 v[105:106], v[52:53], s[8:9], -v[105:106]
	v_fma_f64 v[113:114], v[52:53], s[4:5], v[85:86]
	v_add_f64 v[77:78], v[99:100], v[77:78]
	v_add_f64 v[73:74], v[91:92], v[73:74]
	v_fma_f64 v[52:53], v[52:53], s[4:5], -v[85:86]
	v_add_f64 v[85:86], v[87:88], v[103:104]
	v_add_f64 v[4:5], v[4:5], v[69:70]
	;; [unrolled: 1-line block ×6, first 2 shown]
	v_add_f64 v[67:68], v[67:68], -v[97:98]
	v_fma_f64 v[79:80], v[54:55], s[8:9], v[95:96]
	v_fma_f64 v[87:88], v[54:55], s[14:15], v[107:108]
	v_fma_f64 v[91:92], v[54:55], s[14:15], -v[107:108]
	v_add_f64 v[93:94], v[24:25], v[93:94]
	v_add_f64 v[77:78], v[89:90], v[77:78]
	;; [unrolled: 1-line block ×9, first 2 shown]
	v_mul_f64 v[93:94], v[83:84], s[18:19]
	v_mul_f64 v[83:84], v[83:84], s[36:37]
	v_add_f64 v[67:68], v[67:68], v[73:74]
	v_add_f64 v[48:49], v[91:92], v[48:49]
	;; [unrolled: 1-line block ×4, first 2 shown]
	v_fma_f64 v[81:82], v[54:55], s[8:9], -v[95:96]
	v_add_f64 v[58:59], v[58:59], -v[93:94]
	v_fma_f64 v[93:94], v[54:55], s[16:17], v[83:84]
	v_fma_f64 v[54:55], v[54:55], s[16:17], -v[83:84]
	v_add_f64 v[83:84], v[109:110], v[85:86]
	v_add_f64 v[56:57], v[8:9], v[69:70]
	;; [unrolled: 1-line block ×8, first 2 shown]
	v_mad_u32_u24 v56, 0x58, v64, 0
	ds_write2_b64 v56, v[67:68], v[71:72] offset0:4 offset1:5
	ds_write2_b64 v56, v[69:70], v[2:3] offset0:6 offset1:7
	;; [unrolled: 1-line block ×4, first 2 shown]
	ds_write2_b64 v56, v[54:55], v[48:49] offset1:1
	ds_write_b64 v56, v[0:1] offset:80
.LBB0_13:
	s_or_b32 exec_lo, exec_lo, s1
	v_add_f64 v[87:88], v[32:33], -v[12:13]
	v_add_f64 v[85:86], v[44:45], -v[8:9]
	v_add_f64 v[79:80], v[14:15], v[34:35]
	v_add_f64 v[73:74], v[40:41], -v[16:17]
	v_add_f64 v[71:72], v[10:11], v[46:47]
	v_add_f64 v[40:41], v[18:19], v[42:43]
	v_add_f64 v[69:70], v[36:37], -v[20:21]
	v_add_f64 v[12:13], v[22:23], v[38:39]
	v_add_f64 v[32:33], v[28:29], -v[24:25]
	v_lshl_add_u32 v89, v64, 3, 0
	s_waitcnt lgkmcnt(0)
	s_barrier
	buffer_gl0_inv
	v_add_nc_u32_e32 v90, 0x400, v89
	v_add_nc_u32_e32 v91, 0x800, v89
	v_mul_f64 v[81:82], v[87:88], s[20:21]
	v_mul_f64 v[83:84], v[87:88], s[18:19]
	;; [unrolled: 1-line block ×9, first 2 shown]
	v_fma_f64 v[0:1], v[79:80], s[8:9], -v[81:82]
	v_fma_f64 v[4:5], v[79:80], s[4:5], -v[83:84]
	;; [unrolled: 1-line block ×8, first 2 shown]
	v_add_f64 v[0:1], v[6:7], v[0:1]
	v_add_f64 v[4:5], v[6:7], v[4:5]
	;; [unrolled: 1-line block ×5, first 2 shown]
	v_mul_f64 v[16:17], v[32:33], s[18:19]
	v_add_f64 v[0:1], v[36:37], v[0:1]
	v_add_f64 v[8:9], v[48:49], v[8:9]
	v_fma_f64 v[54:55], v[4:5], s[6:7], -v[20:21]
	v_fma_f64 v[36:37], v[4:5], s[4:5], -v[16:17]
	v_add_f64 v[0:1], v[50:51], v[0:1]
	v_add_f64 v[8:9], v[52:53], v[8:9]
	ds_read2_b64 v[48:51], v89 offset1:99
	v_add_f64 v[36:37], v[36:37], v[0:1]
	v_add_f64 v[8:9], v[54:55], v[8:9]
	ds_read2_b64 v[56:59], v90 offset0:70 offset1:169
	ds_read2_b64 v[52:55], v91 offset0:140 offset1:239
	ds_read_b64 v[0:1], v89 offset:4752
	s_waitcnt lgkmcnt(0)
	s_barrier
	buffer_gl0_inv
	s_and_saveexec_b32 s28, s0
	s_cbranch_execz .LBB0_15
; %bb.14:
	v_add_f64 v[34:35], v[34:35], v[6:7]
	v_mul_f64 v[94:95], v[71:72], s[8:9]
	s_mov_b32 s23, 0xbfed1bb4
	s_mov_b32 s22, 0x8eee2c13
	;; [unrolled: 1-line block ×4, first 2 shown]
	v_mul_f64 v[106:107], v[87:88], s[22:23]
	v_mul_f64 v[98:99], v[40:41], s[16:17]
	;; [unrolled: 1-line block ×3, first 2 shown]
	s_mov_b32 s0, 0x8764f0ba
	s_mov_b32 s16, 0xd9c712b6
	;; [unrolled: 1-line block ×6, first 2 shown]
	v_mul_f64 v[92:93], v[71:72], s[14:15]
	v_mul_f64 v[108:109], v[85:86], s[30:31]
	s_mov_b32 s20, 0x7f775887
	s_mov_b32 s26, 0x43842ef
	;; [unrolled: 1-line block ×5, first 2 shown]
	v_add_f64 v[34:35], v[46:47], v[34:35]
	v_mul_f64 v[46:47], v[79:80], s[4:5]
	s_mov_b32 s34, s18
	v_mul_f64 v[96:97], v[40:41], s[6:7]
	v_add_f64 v[77:78], v[94:95], v[77:78]
	s_mov_b32 s24, 0x640f44db
	s_mov_b32 s25, 0xbfc2375f
	;; [unrolled: 1-line block ×4, first 2 shown]
	v_mul_f64 v[102:103], v[12:13], s[14:15]
	v_add_f64 v[67:68], v[98:99], v[67:68]
	v_add_f64 v[24:25], v[100:101], v[24:25]
	;; [unrolled: 1-line block ×3, first 2 shown]
	v_fma_f64 v[94:95], v[71:72], s[20:21], v[108:109]
	v_fma_f64 v[108:109], v[71:72], s[20:21], -v[108:109]
	v_add_f64 v[34:35], v[42:43], v[34:35]
	v_mul_f64 v[42:43], v[79:80], s[8:9]
	s_mov_b32 s9, 0xbfe14ced
	s_mov_b32 s8, 0xf8bb580b
	v_add_f64 v[46:47], v[46:47], v[83:84]
	v_mul_f64 v[104:105], v[87:88], s[8:9]
	v_mul_f64 v[87:88], v[87:88], s[18:19]
	s_mov_b32 s9, 0x3fe14ced
	v_fma_f64 v[83:84], v[79:80], s[16:17], v[106:107]
	v_fma_f64 v[106:107], v[79:80], s[16:17], -v[106:107]
	v_add_f64 v[44:45], v[96:97], v[44:45]
	v_add_f64 v[28:29], v[102:103], v[28:29]
	;; [unrolled: 1-line block ×3, first 2 shown]
	v_mul_f64 v[38:39], v[85:86], s[22:23]
	v_add_f64 v[42:43], v[42:43], v[81:82]
	v_mul_f64 v[85:86], v[85:86], s[8:9]
	v_add_f64 v[46:47], v[6:7], v[46:47]
	v_fma_f64 v[81:82], v[79:80], s[0:1], v[104:105]
	v_fma_f64 v[110:111], v[79:80], s[14:15], v[87:88]
	v_fma_f64 v[87:88], v[79:80], s[14:15], -v[87:88]
	v_add_f64 v[83:84], v[6:7], v[83:84]
	v_add_f64 v[106:107], v[6:7], v[106:107]
	s_mov_b32 s23, 0x3fed1bb4
	v_add_f64 v[30:31], v[30:31], v[34:35]
	v_fma_f64 v[34:35], v[79:80], s[0:1], -v[104:105]
	v_mul_f64 v[79:80], v[73:74], s[26:27]
	v_mul_f64 v[104:105], v[73:74], s[30:31]
	;; [unrolled: 1-line block ×3, first 2 shown]
	v_fma_f64 v[92:93], v[71:72], s[16:17], v[38:39]
	v_add_f64 v[42:43], v[6:7], v[42:43]
	v_add_f64 v[81:82], v[6:7], v[81:82]
	v_fma_f64 v[38:39], v[71:72], s[16:17], -v[38:39]
	v_fma_f64 v[112:113], v[71:72], s[0:1], v[85:86]
	v_fma_f64 v[71:72], v[71:72], s[0:1], -v[85:86]
	v_add_f64 v[85:86], v[6:7], v[110:111]
	v_add_f64 v[87:88], v[6:7], v[87:88]
	;; [unrolled: 1-line block ×5, first 2 shown]
	v_mul_f64 v[30:31], v[69:70], s[30:31]
	v_mul_f64 v[34:35], v[69:70], s[36:37]
	v_fma_f64 v[96:97], v[40:41], s[24:25], v[79:80]
	v_fma_f64 v[79:80], v[40:41], s[24:25], -v[79:80]
	v_fma_f64 v[98:99], v[40:41], s[20:21], v[104:105]
	v_fma_f64 v[104:105], v[40:41], s[20:21], -v[104:105]
	;; [unrolled: 2-line block ×3, first 2 shown]
	v_add_f64 v[42:43], v[75:76], v[42:43]
	v_add_f64 v[73:74], v[92:93], v[81:82]
	;; [unrolled: 1-line block ×3, first 2 shown]
	v_mul_f64 v[69:70], v[69:70], s[22:23]
	v_add_f64 v[77:78], v[112:113], v[85:86]
	v_add_f64 v[71:72], v[71:72], v[87:88]
	;; [unrolled: 1-line block ×3, first 2 shown]
	v_mul_f64 v[83:84], v[32:33], s[18:19]
	v_mul_f64 v[85:86], v[32:33], s[26:27]
	v_mul_f64 v[32:33], v[32:33], s[8:9]
	v_add_f64 v[22:23], v[22:23], v[26:27]
	v_add_f64 v[6:7], v[38:39], v[6:7]
	v_mul_f64 v[26:27], v[4:5], s[4:5]
	v_mul_f64 v[38:39], v[4:5], s[6:7]
	v_fma_f64 v[87:88], v[12:13], s[20:21], v[30:31]
	v_fma_f64 v[92:93], v[12:13], s[24:25], v[34:35]
	v_fma_f64 v[30:31], v[12:13], s[20:21], -v[30:31]
	v_fma_f64 v[34:35], v[12:13], s[24:25], -v[34:35]
	v_add_f64 v[42:43], v[44:45], v[42:43]
	v_add_f64 v[44:45], v[67:68], v[46:47]
	v_add_f64 v[46:47], v[96:97], v[73:74]
	v_add_f64 v[67:68], v[110:111], v[75:76]
	v_fma_f64 v[94:95], v[12:13], s[16:17], v[69:70]
	v_fma_f64 v[12:13], v[12:13], s[16:17], -v[69:70]
	v_add_f64 v[69:70], v[98:99], v[77:78]
	v_add_f64 v[71:72], v[104:105], v[71:72]
	;; [unrolled: 1-line block ×3, first 2 shown]
	v_fma_f64 v[73:74], v[4:5], s[24:25], -v[85:86]
	v_fma_f64 v[75:76], v[4:5], s[0:1], v[32:33]
	v_add_f64 v[18:19], v[18:19], v[22:23]
	v_add_f64 v[6:7], v[79:80], v[6:7]
	;; [unrolled: 1-line block ×4, first 2 shown]
	v_fma_f64 v[22:23], v[4:5], s[14:15], v[83:84]
	v_fma_f64 v[26:27], v[4:5], s[14:15], -v[83:84]
	v_fma_f64 v[38:39], v[4:5], s[24:25], v[85:86]
	v_fma_f64 v[4:5], v[4:5], s[0:1], -v[32:33]
	v_add_f64 v[24:25], v[24:25], v[42:43]
	v_add_f64 v[28:29], v[28:29], v[44:45]
	;; [unrolled: 1-line block ×18, first 2 shown]
	v_mad_u32_u24 v14, 0x50, v64, v89
	ds_write2_b64 v14, v[22:23], v[16:17] offset0:2 offset1:3
	ds_write2_b64 v14, v[18:19], v[24:25] offset0:4 offset1:5
	ds_write2_b64 v14, v[12:13], v[8:9] offset0:6 offset1:7
	ds_write2_b64 v14, v[36:37], v[4:5] offset0:8 offset1:9
	ds_write2_b64 v14, v[10:11], v[20:21] offset1:1
	ds_write_b64 v14, v[6:7] offset:80
.LBB0_15:
	s_or_b32 exec_lo, exec_lo, s28
	v_and_b32_e32 v4, 0xff, v64
	s_load_dwordx2 s[2:3], s[2:3], 0x0
	s_waitcnt lgkmcnt(0)
	s_barrier
	buffer_gl0_inv
	v_mul_lo_u16 v4, 0x75, v4
	s_mov_b32 s4, 0x37e14327
	s_mov_b32 s8, 0xe976ee23
	;; [unrolled: 1-line block ×4, first 2 shown]
	v_lshrrev_b16 v4, 8, v4
	s_mov_b32 s5, 0x3fe948f6
	s_mov_b32 s9, 0xbfe11646
	;; [unrolled: 1-line block ×4, first 2 shown]
	v_sub_nc_u16 v5, v64, v4
	s_mov_b32 s16, 0xaaaaaaaa
	s_mov_b32 s18, 0x5476071b
	;; [unrolled: 1-line block ×4, first 2 shown]
	v_lshrrev_b16 v5, 1, v5
	s_mov_b32 s19, 0x3fe77f67
	s_mov_b32 s21, 0xbfe77f67
	;; [unrolled: 1-line block ×4, first 2 shown]
	v_and_b32_e32 v5, 0x7f, v5
	s_mov_b32 s20, s18
	s_mov_b32 s24, s22
	;; [unrolled: 1-line block ×4, first 2 shown]
	v_add_nc_u16 v4, v5, v4
	v_mov_b32_e32 v5, 6
	v_cmp_gt_u32_e64 s0, 0x4d, v64
	v_lshrrev_b16 v79, 3, v4
	v_mul_lo_u16 v4, v79, 11
	v_sub_nc_u16 v80, v64, v4
	v_mul_u32_u24_sdwa v4, v80, v5 dst_sel:DWORD dst_unused:UNUSED_PAD src0_sel:BYTE_0 src1_sel:DWORD
	v_lshlrev_b32_e32 v4, 4, v4
	s_clause 0x5
	global_load_dwordx4 v[10:13], v4, s[12:13]
	global_load_dwordx4 v[18:21], v4, s[12:13] offset:16
	global_load_dwordx4 v[22:25], v4, s[12:13] offset:80
	;; [unrolled: 1-line block ×5, first 2 shown]
	ds_read2_b64 v[4:7], v89 offset1:99
	ds_read2_b64 v[32:35], v90 offset0:70 offset1:169
	ds_read_b64 v[46:47], v89 offset:4752
	ds_read2_b64 v[71:74], v91 offset0:140 offset1:239
	s_waitcnt vmcnt(0) lgkmcnt(0)
	s_barrier
	buffer_gl0_inv
	v_mul_f64 v[14:15], v[6:7], v[12:13]
	v_mul_f64 v[16:17], v[32:33], v[20:21]
	;; [unrolled: 1-line block ×12, first 2 shown]
	v_fma_f64 v[14:15], v[50:51], v[10:11], -v[14:15]
	v_fma_f64 v[26:27], v[56:57], v[18:19], -v[16:17]
	;; [unrolled: 1-line block ×4, first 2 shown]
	v_fma_f64 v[6:7], v[6:7], v[10:11], v[12:13]
	v_fma_f64 v[32:33], v[32:33], v[18:19], v[20:21]
	v_fma_f64 v[28:29], v[58:59], v[42:43], -v[75:76]
	v_fma_f64 v[34:35], v[34:35], v[42:43], v[44:45]
	v_fma_f64 v[42:43], v[73:74], v[38:39], v[40:41]
	v_fma_f64 v[38:39], v[52:53], v[67:68], -v[77:78]
	v_fma_f64 v[40:41], v[71:72], v[67:68], v[69:70]
	v_fma_f64 v[44:45], v[46:47], v[22:23], v[24:25]
	v_add_f64 v[0:1], v[14:15], v[16:17]
	v_add_f64 v[12:13], v[26:27], v[30:31]
	v_add_f64 v[10:11], v[32:33], -v[42:43]
	v_add_f64 v[18:19], v[28:29], v[38:39]
	v_add_f64 v[20:21], v[40:41], -v[34:35]
	v_add_f64 v[22:23], v[6:7], -v[44:45]
	v_add_f64 v[24:25], v[12:13], v[0:1]
	v_add_f64 v[46:47], v[0:1], -v[18:19]
	v_add_f64 v[50:51], v[20:21], -v[10:11]
	;; [unrolled: 1-line block ×3, first 2 shown]
	v_add_f64 v[54:55], v[20:21], v[10:11]
	v_add_f64 v[20:21], v[22:23], -v[20:21]
	v_add_f64 v[0:1], v[12:13], -v[0:1]
	v_add_f64 v[24:25], v[18:19], v[24:25]
	v_add_f64 v[18:19], v[18:19], -v[12:13]
	v_mul_f64 v[46:47], v[46:47], s[4:5]
	v_mul_f64 v[50:51], v[50:51], s[8:9]
	;; [unrolled: 1-line block ×3, first 2 shown]
	v_add_f64 v[22:23], v[54:55], v[22:23]
	v_add_f64 v[10:11], v[48:49], v[24:25]
	v_mul_f64 v[12:13], v[18:19], s[14:15]
	v_fma_f64 v[18:19], v[18:19], s[14:15], v[46:47]
	v_fma_f64 v[48:49], v[20:21], s[22:23], v[50:51]
	v_fma_f64 v[50:51], v[52:53], s[6:7], -v[50:51]
	v_fma_f64 v[20:21], v[20:21], s[24:25], -v[56:57]
	;; [unrolled: 1-line block ×3, first 2 shown]
	v_fma_f64 v[24:25], v[24:25], s[16:17], v[10:11]
	v_fma_f64 v[0:1], v[0:1], s[18:19], -v[12:13]
	v_fma_f64 v[48:49], v[22:23], s[26:27], v[48:49]
	v_fma_f64 v[50:51], v[22:23], s[26:27], v[50:51]
	;; [unrolled: 1-line block ×3, first 2 shown]
	v_add_f64 v[54:55], v[18:19], v[24:25]
	v_add_f64 v[46:47], v[46:47], v[24:25]
	;; [unrolled: 1-line block ×5, first 2 shown]
	v_add_f64 v[20:21], v[0:1], -v[50:51]
	v_add_f64 v[22:23], v[50:51], v[0:1]
	v_add_f64 v[24:25], v[46:47], -v[52:53]
	v_add_f64 v[0:1], v[54:55], -v[48:49]
	v_mov_b32_e32 v46, 0x268
	v_mov_b32_e32 v47, 3
	v_mul_u32_u24_sdwa v46, v79, v46 dst_sel:DWORD dst_unused:UNUSED_PAD src0_sel:WORD_0 src1_sel:DWORD
	v_lshlrev_b32_sdwa v47, v47, v80 dst_sel:DWORD dst_unused:UNUSED_PAD src0_sel:DWORD src1_sel:BYTE_0
	v_add3_u32 v46, 0, v46, v47
	ds_write2_b64 v46, v[10:11], v[12:13] offset1:11
	ds_write2_b64 v46, v[18:19], v[20:21] offset0:22 offset1:33
	ds_write2_b64 v46, v[22:23], v[24:25] offset0:44 offset1:55
	ds_write_b64 v46, v[0:1] offset:528
	s_waitcnt lgkmcnt(0)
	s_barrier
	buffer_gl0_inv
	s_and_saveexec_b32 s1, s0
	s_cbranch_execz .LBB0_17
; %bb.16:
	v_add_nc_u32_e32 v0, 0x800, v89
	v_add_nc_u32_e32 v1, 0xc00, v89
	ds_read2_b64 v[10:13], v89 offset1:77
	ds_read2_b64 v[18:21], v89 offset0:154 offset1:231
	ds_read2_b64 v[22:25], v0 offset0:52 offset1:129
	;; [unrolled: 1-line block ×3, first 2 shown]
	ds_read_b64 v[65:66], v89 offset:4928
.LBB0_17:
	s_or_b32 exec_lo, exec_lo, s1
	v_add_f64 v[6:7], v[6:7], v[44:45]
	v_add_f64 v[32:33], v[32:33], v[42:43]
	v_add_f64 v[26:27], v[26:27], -v[30:31]
	v_add_f64 v[30:31], v[34:35], v[40:41]
	v_add_f64 v[28:29], v[38:39], -v[28:29]
	v_add_f64 v[16:17], v[14:15], -v[16:17]
	s_waitcnt lgkmcnt(0)
	s_barrier
	buffer_gl0_inv
	v_add_f64 v[14:15], v[32:33], v[6:7]
	v_add_f64 v[34:35], v[6:7], -v[30:31]
	v_add_f64 v[38:39], v[28:29], -v[26:27]
	;; [unrolled: 1-line block ×3, first 2 shown]
	v_add_f64 v[26:27], v[28:29], v[26:27]
	v_add_f64 v[28:29], v[16:17], -v[28:29]
	v_add_f64 v[42:43], v[30:31], v[14:15]
	v_add_f64 v[30:31], v[30:31], -v[32:33]
	v_mul_f64 v[34:35], v[34:35], s[4:5]
	v_mul_f64 v[38:39], v[38:39], s[8:9]
	;; [unrolled: 1-line block ×3, first 2 shown]
	v_add_f64 v[16:17], v[26:27], v[16:17]
	v_add_f64 v[14:15], v[4:5], v[42:43]
	v_add_f64 v[4:5], v[32:33], -v[6:7]
	v_mul_f64 v[6:7], v[30:31], s[14:15]
	v_fma_f64 v[26:27], v[30:31], s[14:15], v[34:35]
	v_fma_f64 v[30:31], v[28:29], s[22:23], v[38:39]
	v_fma_f64 v[32:33], v[40:41], s[6:7], -v[38:39]
	v_fma_f64 v[28:29], v[28:29], s[24:25], -v[44:45]
	v_fma_f64 v[38:39], v[42:43], s[16:17], v[14:15]
	v_fma_f64 v[34:35], v[4:5], s[20:21], -v[34:35]
	v_fma_f64 v[4:5], v[4:5], s[18:19], -v[6:7]
	v_fma_f64 v[6:7], v[16:17], s[26:27], v[30:31]
	v_fma_f64 v[30:31], v[16:17], s[26:27], v[32:33]
	;; [unrolled: 1-line block ×3, first 2 shown]
	v_add_f64 v[40:41], v[26:27], v[38:39]
	v_add_f64 v[34:35], v[34:35], v[38:39]
	;; [unrolled: 1-line block ×3, first 2 shown]
	v_add_f64 v[16:17], v[40:41], -v[6:7]
	v_add_f64 v[26:27], v[34:35], -v[32:33]
	v_add_f64 v[28:29], v[30:31], v[4:5]
	v_add_f64 v[30:31], v[4:5], -v[30:31]
	v_add_f64 v[32:33], v[32:33], v[34:35]
	v_add_f64 v[6:7], v[6:7], v[40:41]
	ds_write2_b64 v46, v[14:15], v[16:17] offset1:11
	ds_write2_b64 v46, v[26:27], v[28:29] offset0:22 offset1:33
	ds_write2_b64 v46, v[30:31], v[32:33] offset0:44 offset1:55
	ds_write_b64 v46, v[6:7] offset:528
	s_waitcnt lgkmcnt(0)
	s_barrier
	buffer_gl0_inv
	s_and_saveexec_b32 s1, s0
	s_cbranch_execnz .LBB0_20
; %bb.18:
	s_or_b32 exec_lo, exec_lo, s1
	s_and_b32 s0, vcc_lo, s0
	s_and_saveexec_b32 s1, s0
	s_cbranch_execnz .LBB0_21
.LBB0_19:
	s_endpgm
.LBB0_20:
	v_add_nc_u32_e32 v4, 0x800, v89
	v_add_nc_u32_e32 v5, 0xc00, v89
	ds_read2_b64 v[14:17], v89 offset1:77
	ds_read2_b64 v[26:29], v89 offset0:154 offset1:231
	ds_read2_b64 v[30:33], v4 offset0:52 offset1:129
	;; [unrolled: 1-line block ×3, first 2 shown]
	ds_read_b64 v[36:37], v89 offset:4928
	s_or_b32 exec_lo, exec_lo, s1
	s_and_b32 s0, vcc_lo, s0
	s_and_saveexec_b32 s1, s0
	s_cbranch_execz .LBB0_19
.LBB0_21:
	v_lshlrev_b32_e32 v4, 3, v64
	v_mov_b32_e32 v5, 0
	s_mov_b32 s0, 0x8c811c17
	s_mov_b32 s1, 0x3fef838b
	;; [unrolled: 1-line block ×4, first 2 shown]
	v_lshlrev_b64 v[34:35], 4, v[4:5]
	s_mov_b32 s5, 0xbfe491b7
	s_mov_b32 s4, 0x523c161c
	v_mul_lo_u32 v4, s3, v62
	v_mul_lo_u32 v91, s2, v63
	v_mad_u64_u32 v[62:63], null, s2, v62, 0
	v_add_co_u32 v34, vcc_lo, s12, v34
	v_add_co_ci_u32_e32 v35, vcc_lo, s13, v35, vcc_lo
	s_mov_b32 s2, 0xe8584cab
	s_clause 0x7
	global_load_dwordx4 v[38:41], v[34:35], off offset:1104
	global_load_dwordx4 v[42:45], v[34:35], off offset:1120
	;; [unrolled: 1-line block ×8, first 2 shown]
	s_mov_b32 s3, 0x3febb67a
	v_add3_u32 v63, v63, v91, v4
	s_waitcnt vmcnt(7) lgkmcnt(2)
	v_mul_f64 v[34:35], v[30:31], v[40:41]
	s_waitcnt vmcnt(6)
	v_mul_f64 v[58:59], v[32:33], v[44:45]
	v_mul_f64 v[40:41], v[22:23], v[40:41]
	;; [unrolled: 1-line block ×3, first 2 shown]
	s_waitcnt vmcnt(5)
	v_mul_f64 v[79:80], v[26:27], v[48:49]
	s_waitcnt vmcnt(4) lgkmcnt(1)
	v_mul_f64 v[81:82], v[8:9], v[52:53]
	v_mul_f64 v[48:49], v[18:19], v[48:49]
	;; [unrolled: 1-line block ×3, first 2 shown]
	s_waitcnt vmcnt(3)
	v_mul_f64 v[83:84], v[12:13], v[56:57]
	s_waitcnt vmcnt(2)
	v_mul_f64 v[85:86], v[65:66], v[69:70]
	v_mul_f64 v[56:57], v[16:17], v[56:57]
	s_waitcnt lgkmcnt(0)
	v_mul_f64 v[69:70], v[36:37], v[69:70]
	v_fma_f64 v[22:23], v[22:23], v[38:39], -v[34:35]
	v_fma_f64 v[24:25], v[24:25], v[42:43], -v[58:59]
	v_fma_f64 v[30:31], v[30:31], v[38:39], v[40:41]
	v_fma_f64 v[32:33], v[32:33], v[42:43], v[44:45]
	s_waitcnt vmcnt(1)
	v_mul_f64 v[34:35], v[28:29], v[73:74]
	v_mul_f64 v[40:41], v[20:21], v[73:74]
	v_fma_f64 v[18:19], v[18:19], v[46:47], -v[79:80]
	v_fma_f64 v[2:3], v[2:3], v[50:51], -v[81:82]
	v_fma_f64 v[26:27], v[26:27], v[46:47], v[48:49]
	v_fma_f64 v[8:9], v[8:9], v[50:51], v[52:53]
	s_waitcnt vmcnt(0)
	v_mul_f64 v[38:39], v[6:7], v[77:78]
	v_mul_f64 v[42:43], v[0:1], v[77:78]
	v_fma_f64 v[16:17], v[16:17], v[54:55], v[83:84]
	v_fma_f64 v[36:37], v[36:37], v[67:68], v[85:86]
	v_fma_f64 v[12:13], v[12:13], v[54:55], -v[56:57]
	v_fma_f64 v[44:45], v[65:66], v[67:68], -v[69:70]
	v_add_f64 v[46:47], v[22:23], -v[24:25]
	v_add_f64 v[48:49], v[30:31], -v[32:33]
	v_fma_f64 v[20:21], v[20:21], v[71:72], -v[34:35]
	v_fma_f64 v[28:29], v[28:29], v[71:72], v[40:41]
	v_add_f64 v[50:51], v[30:31], v[32:33]
	v_add_f64 v[40:41], v[18:19], v[2:3]
	v_add_f64 v[2:3], v[18:19], -v[2:3]
	v_add_f64 v[34:35], v[26:27], v[8:9]
	v_add_f64 v[8:9], v[26:27], -v[8:9]
	v_fma_f64 v[0:1], v[0:1], v[75:76], -v[38:39]
	v_fma_f64 v[6:7], v[6:7], v[75:76], v[42:43]
	v_add_f64 v[38:39], v[16:17], v[36:37]
	v_add_f64 v[18:19], v[22:23], v[24:25]
	v_add_f64 v[42:43], v[12:13], v[44:45]
	v_add_f64 v[12:13], v[12:13], -v[44:45]
	v_add_f64 v[16:17], v[16:17], -v[36:37]
	v_mul_f64 v[26:27], v[46:47], s[0:1]
	v_mul_f64 v[67:68], v[46:47], s[4:5]
	v_mul_f64 v[52:53], v[48:49], s[0:1]
	v_mul_f64 v[71:72], v[48:49], s[4:5]
	v_fma_f64 v[69:70], v[50:51], s[6:7], v[14:15]
	v_fma_f64 v[56:57], v[40:41], s[6:7], v[10:11]
	;; [unrolled: 1-line block ×3, first 2 shown]
	v_add_f64 v[44:45], v[20:21], v[0:1]
	v_add_f64 v[36:37], v[28:29], v[6:7]
	;; [unrolled: 1-line block ×3, first 2 shown]
	v_fma_f64 v[73:74], v[18:19], s[6:7], v[10:11]
	v_add_f64 v[65:66], v[40:41], v[42:43]
	v_fma_f64 v[75:76], v[38:39], s[6:7], v[14:15]
	v_fma_f64 v[77:78], v[42:43], s[6:7], v[10:11]
	v_add_f64 v[0:1], v[20:21], -v[0:1]
	v_add_f64 v[6:7], v[28:29], -v[6:7]
	v_add_f64 v[83:84], v[46:47], v[12:13]
	v_add_f64 v[87:88], v[48:49], v[16:17]
	s_mov_b32 s6, 0x42522d1b
	v_fma_f64 v[26:27], v[2:3], s[4:5], -v[26:27]
	v_fma_f64 v[67:68], v[12:13], s[0:1], v[67:68]
	v_fma_f64 v[52:53], v[8:9], s[4:5], -v[52:53]
	s_mov_b32 s5, 0x3fe491b7
	v_fma_f64 v[71:72], v[16:17], s[0:1], v[71:72]
	v_mul_f64 v[79:80], v[12:13], s[4:5]
	v_mul_f64 v[81:82], v[16:17], s[4:5]
	s_mov_b32 s4, 0x7e0b738b
	s_mov_b32 s5, 0x3fc63a1a
	;; [unrolled: 1-line block ×3, first 2 shown]
	v_fma_f64 v[20:21], v[50:51], s[4:5], v[54:55]
	v_fma_f64 v[28:29], v[18:19], s[4:5], v[56:57]
	v_add_f64 v[54:55], v[36:37], v[58:59]
	v_fma_f64 v[69:70], v[38:39], s[4:5], v[69:70]
	v_add_f64 v[56:57], v[44:45], v[65:66]
	v_fma_f64 v[73:74], v[42:43], s[4:5], v[73:74]
	v_fma_f64 v[75:76], v[34:35], s[4:5], v[75:76]
	;; [unrolled: 1-line block ×3, first 2 shown]
	v_add_f64 v[85:86], v[14:15], v[36:37]
	v_add_f64 v[89:90], v[10:11], v[44:45]
	;; [unrolled: 1-line block ×4, first 2 shown]
	v_fma_f64 v[26:27], v[0:1], s[2:3], v[26:27]
	s_mov_b32 s4, 0x748a0bf8
	v_fma_f64 v[52:53], v[6:7], s[2:3], v[52:53]
	s_mov_b32 s5, 0x3fd5e3a8
	v_fma_f64 v[79:80], v[2:3], s[0:1], v[79:80]
	v_fma_f64 v[81:82], v[8:9], s[0:1], v[81:82]
	s_mov_b32 s1, 0xbfebb67a
	s_mov_b32 s0, s2
	v_fma_f64 v[20:21], v[36:37], -0.5, v[20:21]
	v_fma_f64 v[28:29], v[44:45], -0.5, v[28:29]
	v_add_f64 v[30:31], v[30:31], v[54:55]
	v_fma_f64 v[54:55], v[0:1], s[0:1], v[67:68]
	v_add_f64 v[22:23], v[22:23], v[56:57]
	v_fma_f64 v[56:57], v[36:37], -0.5, v[69:70]
	v_fma_f64 v[67:68], v[6:7], s[0:1], v[71:72]
	v_fma_f64 v[69:70], v[44:45], -0.5, v[73:74]
	v_fma_f64 v[36:37], v[36:37], -0.5, v[75:76]
	;; [unrolled: 1-line block ×3, first 2 shown]
	v_add_f64 v[71:72], v[83:84], -v[2:3]
	v_add_f64 v[73:74], v[87:88], -v[8:9]
	v_fma_f64 v[26:27], v[12:13], s[4:5], v[26:27]
	v_fma_f64 v[58:59], v[58:59], -0.5, v[85:86]
	v_fma_f64 v[75:76], v[65:66], -0.5, v[89:90]
	v_mov_b32_e32 v65, v5
	v_fma_f64 v[0:1], v[0:1], s[2:3], v[79:80]
	v_fma_f64 v[6:7], v[6:7], s[2:3], v[81:82]
	;; [unrolled: 1-line block ×5, first 2 shown]
	v_add_f64 v[20:21], v[32:33], v[30:31]
	v_add_f64 v[22:23], v[24:25], v[22:23]
	v_fma_f64 v[30:31], v[2:3], s[4:5], v[54:55]
	v_fma_f64 v[24:25], v[34:35], s[6:7], v[56:57]
	;; [unrolled: 1-line block ×6, first 2 shown]
	v_mul_f64 v[44:45], v[71:72], s[2:3]
	v_lshlrev_b64 v[36:37], 4, v[60:61]
	v_fma_f64 v[2:3], v[71:72], s[0:1], v[58:59]
	v_lshlrev_b64 v[42:43], 4, v[64:65]
	v_fma_f64 v[34:35], v[46:47], s[4:5], v[0:1]
	v_fma_f64 v[40:41], v[48:49], s[4:5], v[6:7]
	v_lshlrev_b64 v[0:1], 4, v[62:63]
	v_mul_f64 v[46:47], v[73:74], s[2:3]
	v_add_f64 v[6:7], v[12:13], -v[26:27]
	v_add_f64 v[4:5], v[38:39], v[16:17]
	v_add_co_u32 v48, vcc_lo, s10, v0
	v_add_co_ci_u32_e32 v49, vcc_lo, s11, v1, vcc_lo
	v_fma_f64 v[0:1], v[73:74], s[2:3], v[75:76]
	v_add_f64 v[12:13], v[14:15], v[20:21]
	v_add_f64 v[16:17], v[24:25], -v[30:31]
	v_add_f64 v[14:15], v[8:9], v[28:29]
	v_add_f64 v[10:11], v[10:11], v[22:23]
	v_add_co_u32 v22, vcc_lo, v48, v36
	v_add_co_ci_u32_e32 v23, vcc_lo, v49, v37, vcc_lo
	v_fma_f64 v[24:25], v[44:45], 2.0, v[2:3]
	v_add_f64 v[20:21], v[32:33], -v[34:35]
	v_add_f64 v[18:19], v[40:41], v[18:19]
	v_add_co_u32 v42, vcc_lo, v22, v42
	v_add_co_ci_u32_e32 v43, vcc_lo, v23, v43, vcc_lo
	v_fma_f64 v[28:29], v[26:27], 2.0, v[6:7]
	v_fma_f64 v[26:27], v[38:39], -2.0, v[4:5]
	v_add_co_u32 v48, vcc_lo, 0x800, v42
	v_add_co_ci_u32_e32 v49, vcc_lo, 0, v43, vcc_lo
	v_fma_f64 v[22:23], v[46:47], -2.0, v[0:1]
	global_store_dwordx4 v[42:43], v[10:13], off
	global_store_dwordx4 v[42:43], v[18:21], off offset:1232
	global_store_dwordx4 v[48:49], v[14:17], off offset:416
	v_fma_f64 v[32:33], v[30:31], 2.0, v[16:17]
	v_fma_f64 v[30:31], v[8:9], -2.0, v[14:15]
	v_fma_f64 v[36:37], v[34:35], 2.0, v[20:21]
	v_fma_f64 v[34:35], v[40:41], -2.0, v[18:19]
	v_add_co_u32 v8, vcc_lo, 0x1000, v42
	v_add_co_ci_u32_e32 v9, vcc_lo, 0, v43, vcc_lo
	v_add_co_u32 v10, vcc_lo, 0x1800, v42
	v_add_co_ci_u32_e32 v11, vcc_lo, 0, v43, vcc_lo
	;; [unrolled: 2-line block ×3, first 2 shown]
	global_store_dwordx4 v[48:49], v[0:3], off offset:1648
	global_store_dwordx4 v[8:9], v[4:7], off offset:832
	;; [unrolled: 1-line block ×6, first 2 shown]
	s_endpgm
	.section	.rodata,"a",@progbits
	.p2align	6, 0x0
	.amdhsa_kernel fft_rtc_fwd_len693_factors_11_7_9_wgs_99_tpt_99_halfLds_dp_op_CI_CI_unitstride_sbrr_dirReg
		.amdhsa_group_segment_fixed_size 0
		.amdhsa_private_segment_fixed_size 0
		.amdhsa_kernarg_size 104
		.amdhsa_user_sgpr_count 6
		.amdhsa_user_sgpr_private_segment_buffer 1
		.amdhsa_user_sgpr_dispatch_ptr 0
		.amdhsa_user_sgpr_queue_ptr 0
		.amdhsa_user_sgpr_kernarg_segment_ptr 1
		.amdhsa_user_sgpr_dispatch_id 0
		.amdhsa_user_sgpr_flat_scratch_init 0
		.amdhsa_user_sgpr_private_segment_size 0
		.amdhsa_wavefront_size32 1
		.amdhsa_uses_dynamic_stack 0
		.amdhsa_system_sgpr_private_segment_wavefront_offset 0
		.amdhsa_system_sgpr_workgroup_id_x 1
		.amdhsa_system_sgpr_workgroup_id_y 0
		.amdhsa_system_sgpr_workgroup_id_z 0
		.amdhsa_system_sgpr_workgroup_info 0
		.amdhsa_system_vgpr_workitem_id 0
		.amdhsa_next_free_vgpr 123
		.amdhsa_next_free_sgpr 38
		.amdhsa_reserve_vcc 1
		.amdhsa_reserve_flat_scratch 0
		.amdhsa_float_round_mode_32 0
		.amdhsa_float_round_mode_16_64 0
		.amdhsa_float_denorm_mode_32 3
		.amdhsa_float_denorm_mode_16_64 3
		.amdhsa_dx10_clamp 1
		.amdhsa_ieee_mode 1
		.amdhsa_fp16_overflow 0
		.amdhsa_workgroup_processor_mode 1
		.amdhsa_memory_ordered 1
		.amdhsa_forward_progress 0
		.amdhsa_shared_vgpr_count 0
		.amdhsa_exception_fp_ieee_invalid_op 0
		.amdhsa_exception_fp_denorm_src 0
		.amdhsa_exception_fp_ieee_div_zero 0
		.amdhsa_exception_fp_ieee_overflow 0
		.amdhsa_exception_fp_ieee_underflow 0
		.amdhsa_exception_fp_ieee_inexact 0
		.amdhsa_exception_int_div_zero 0
	.end_amdhsa_kernel
	.text
.Lfunc_end0:
	.size	fft_rtc_fwd_len693_factors_11_7_9_wgs_99_tpt_99_halfLds_dp_op_CI_CI_unitstride_sbrr_dirReg, .Lfunc_end0-fft_rtc_fwd_len693_factors_11_7_9_wgs_99_tpt_99_halfLds_dp_op_CI_CI_unitstride_sbrr_dirReg
                                        ; -- End function
	.section	.AMDGPU.csdata,"",@progbits
; Kernel info:
; codeLenInByte = 7708
; NumSgprs: 40
; NumVgprs: 123
; ScratchSize: 0
; MemoryBound: 1
; FloatMode: 240
; IeeeMode: 1
; LDSByteSize: 0 bytes/workgroup (compile time only)
; SGPRBlocks: 4
; VGPRBlocks: 15
; NumSGPRsForWavesPerEU: 40
; NumVGPRsForWavesPerEU: 123
; Occupancy: 8
; WaveLimiterHint : 1
; COMPUTE_PGM_RSRC2:SCRATCH_EN: 0
; COMPUTE_PGM_RSRC2:USER_SGPR: 6
; COMPUTE_PGM_RSRC2:TRAP_HANDLER: 0
; COMPUTE_PGM_RSRC2:TGID_X_EN: 1
; COMPUTE_PGM_RSRC2:TGID_Y_EN: 0
; COMPUTE_PGM_RSRC2:TGID_Z_EN: 0
; COMPUTE_PGM_RSRC2:TIDIG_COMP_CNT: 0
	.text
	.p2alignl 6, 3214868480
	.fill 48, 4, 3214868480
	.type	__hip_cuid_b20c07be5b23f9a,@object ; @__hip_cuid_b20c07be5b23f9a
	.section	.bss,"aw",@nobits
	.globl	__hip_cuid_b20c07be5b23f9a
__hip_cuid_b20c07be5b23f9a:
	.byte	0                               ; 0x0
	.size	__hip_cuid_b20c07be5b23f9a, 1

	.ident	"AMD clang version 19.0.0git (https://github.com/RadeonOpenCompute/llvm-project roc-6.4.0 25133 c7fe45cf4b819c5991fe208aaa96edf142730f1d)"
	.section	".note.GNU-stack","",@progbits
	.addrsig
	.addrsig_sym __hip_cuid_b20c07be5b23f9a
	.amdgpu_metadata
---
amdhsa.kernels:
  - .args:
      - .actual_access:  read_only
        .address_space:  global
        .offset:         0
        .size:           8
        .value_kind:     global_buffer
      - .offset:         8
        .size:           8
        .value_kind:     by_value
      - .actual_access:  read_only
        .address_space:  global
        .offset:         16
        .size:           8
        .value_kind:     global_buffer
      - .actual_access:  read_only
        .address_space:  global
        .offset:         24
        .size:           8
        .value_kind:     global_buffer
      - .actual_access:  read_only
        .address_space:  global
        .offset:         32
        .size:           8
        .value_kind:     global_buffer
      - .offset:         40
        .size:           8
        .value_kind:     by_value
      - .actual_access:  read_only
        .address_space:  global
        .offset:         48
        .size:           8
        .value_kind:     global_buffer
      - .actual_access:  read_only
        .address_space:  global
        .offset:         56
        .size:           8
        .value_kind:     global_buffer
      - .offset:         64
        .size:           4
        .value_kind:     by_value
      - .actual_access:  read_only
        .address_space:  global
        .offset:         72
        .size:           8
        .value_kind:     global_buffer
      - .actual_access:  read_only
        .address_space:  global
        .offset:         80
        .size:           8
        .value_kind:     global_buffer
      - .actual_access:  read_only
        .address_space:  global
        .offset:         88
        .size:           8
        .value_kind:     global_buffer
      - .actual_access:  write_only
        .address_space:  global
        .offset:         96
        .size:           8
        .value_kind:     global_buffer
    .group_segment_fixed_size: 0
    .kernarg_segment_align: 8
    .kernarg_segment_size: 104
    .language:       OpenCL C
    .language_version:
      - 2
      - 0
    .max_flat_workgroup_size: 99
    .name:           fft_rtc_fwd_len693_factors_11_7_9_wgs_99_tpt_99_halfLds_dp_op_CI_CI_unitstride_sbrr_dirReg
    .private_segment_fixed_size: 0
    .sgpr_count:     40
    .sgpr_spill_count: 0
    .symbol:         fft_rtc_fwd_len693_factors_11_7_9_wgs_99_tpt_99_halfLds_dp_op_CI_CI_unitstride_sbrr_dirReg.kd
    .uniform_work_group_size: 1
    .uses_dynamic_stack: false
    .vgpr_count:     123
    .vgpr_spill_count: 0
    .wavefront_size: 32
    .workgroup_processor_mode: 1
amdhsa.target:   amdgcn-amd-amdhsa--gfx1030
amdhsa.version:
  - 1
  - 2
...

	.end_amdgpu_metadata
